;; amdgpu-corpus repo=ROCm/rocFFT kind=compiled arch=gfx1201 opt=O3
	.text
	.amdgcn_target "amdgcn-amd-amdhsa--gfx1201"
	.amdhsa_code_object_version 6
	.protected	fft_rtc_back_len112_factors_4_7_4_wgs_448_tpt_28_dp_ip_CI_sbcc ; -- Begin function fft_rtc_back_len112_factors_4_7_4_wgs_448_tpt_28_dp_ip_CI_sbcc
	.globl	fft_rtc_back_len112_factors_4_7_4_wgs_448_tpt_28_dp_ip_CI_sbcc
	.p2align	8
	.type	fft_rtc_back_len112_factors_4_7_4_wgs_448_tpt_28_dp_ip_CI_sbcc,@function
fft_rtc_back_len112_factors_4_7_4_wgs_448_tpt_28_dp_ip_CI_sbcc: ; @fft_rtc_back_len112_factors_4_7_4_wgs_448_tpt_28_dp_ip_CI_sbcc
; %bb.0:
	s_load_b128 s[8:11], s[0:1], 0x18
	s_mov_b32 s16, ttmp9
	s_mov_b32 s17, 0
	s_mov_b64 s[24:25], 0
	s_wait_kmcnt 0x0
	s_load_b64 s[12:13], s[8:9], 0x8
	s_wait_kmcnt 0x0
	s_add_nc_u64 s[2:3], s[12:13], -1
	s_delay_alu instid0(SALU_CYCLE_1) | instskip(NEXT) | instid1(SALU_CYCLE_1)
	s_lshr_b64 s[2:3], s[2:3], 4
	s_add_nc_u64 s[14:15], s[2:3], 1
	s_delay_alu instid0(SALU_CYCLE_1) | instskip(NEXT) | instid1(VALU_DEP_1)
	v_cmp_lt_u64_e64 s2, s[16:17], s[14:15]
	s_and_b32 vcc_lo, exec_lo, s2
	s_cbranch_vccnz .LBB0_2
; %bb.1:
	v_cvt_f32_u32_e32 v1, s14
	s_sub_co_i32 s3, 0, s14
	s_mov_b32 s25, s17
	s_delay_alu instid0(VALU_DEP_1) | instskip(NEXT) | instid1(TRANS32_DEP_1)
	v_rcp_iflag_f32_e32 v1, v1
	v_mul_f32_e32 v1, 0x4f7ffffe, v1
	s_delay_alu instid0(VALU_DEP_1) | instskip(NEXT) | instid1(VALU_DEP_1)
	v_cvt_u32_f32_e32 v1, v1
	v_readfirstlane_b32 s2, v1
	s_delay_alu instid0(VALU_DEP_1) | instskip(NEXT) | instid1(SALU_CYCLE_1)
	s_mul_i32 s3, s3, s2
	s_mul_hi_u32 s3, s2, s3
	s_delay_alu instid0(SALU_CYCLE_1) | instskip(NEXT) | instid1(SALU_CYCLE_1)
	s_add_co_i32 s2, s2, s3
	s_mul_hi_u32 s2, s16, s2
	s_delay_alu instid0(SALU_CYCLE_1) | instskip(SKIP_2) | instid1(SALU_CYCLE_1)
	s_mul_i32 s3, s2, s14
	s_add_co_i32 s4, s2, 1
	s_sub_co_i32 s3, s16, s3
	s_sub_co_i32 s5, s3, s14
	s_cmp_ge_u32 s3, s14
	s_cselect_b32 s2, s4, s2
	s_cselect_b32 s3, s5, s3
	s_add_co_i32 s4, s2, 1
	s_cmp_ge_u32 s3, s14
	s_cselect_b32 s24, s4, s2
.LBB0_2:
	s_load_b64 s[22:23], s[0:1], 0x10
	s_load_b128 s[4:7], s[10:11], 0x0
	s_load_b64 s[2:3], s[0:1], 0x0
	s_mul_u64 s[18:19], s[24:25], s[14:15]
	s_delay_alu instid0(SALU_CYCLE_1) | instskip(NEXT) | instid1(SALU_CYCLE_1)
	s_sub_nc_u64 s[18:19], s[16:17], s[18:19]
	s_lshl_b64 s[20:21], s[18:19], 4
	s_wait_kmcnt 0x0
	v_cmp_lt_u64_e64 s26, s[22:23], 3
	s_mul_u64 s[18:19], s[6:7], s[20:21]
	s_delay_alu instid0(VALU_DEP_1)
	s_and_b32 vcc_lo, exec_lo, s26
	s_cbranch_vccnz .LBB0_12
; %bb.3:
	s_add_nc_u64 s[26:27], s[10:11], 16
	s_add_nc_u64 s[8:9], s[8:9], 16
	s_mov_b64 s[28:29], 2
	s_mov_b32 s30, 0
.LBB0_4:                                ; =>This Inner Loop Header: Depth=1
	s_load_b64 s[34:35], s[8:9], 0x0
                                        ; implicit-def: $sgpr38_sgpr39
	s_wait_kmcnt 0x0
	s_or_b64 s[36:37], s[24:25], s[34:35]
	s_delay_alu instid0(SALU_CYCLE_1)
	s_mov_b32 s31, s37
	s_mov_b32 s37, -1
	s_wait_alu 0xfffe
	s_cmp_lg_u64 s[30:31], 0
	s_cbranch_scc0 .LBB0_6
; %bb.5:                                ;   in Loop: Header=BB0_4 Depth=1
	s_cvt_f32_u32 s31, s34
	s_cvt_f32_u32 s33, s35
	s_sub_nc_u64 s[40:41], 0, s[34:35]
	s_mov_b32 s37, 0
	s_mov_b32 s45, s30
	s_wait_alu 0xfffe
	s_fmamk_f32 s31, s33, 0x4f800000, s31
	s_wait_alu 0xfffe
	s_delay_alu instid0(SALU_CYCLE_2) | instskip(NEXT) | instid1(TRANS32_DEP_1)
	v_s_rcp_f32 s31, s31
	s_mul_f32 s31, s31, 0x5f7ffffc
	s_wait_alu 0xfffe
	s_delay_alu instid0(SALU_CYCLE_2) | instskip(NEXT) | instid1(SALU_CYCLE_3)
	s_mul_f32 s33, s31, 0x2f800000
	s_trunc_f32 s33, s33
	s_delay_alu instid0(SALU_CYCLE_3) | instskip(SKIP_2) | instid1(SALU_CYCLE_1)
	s_fmamk_f32 s31, s33, 0xcf800000, s31
	s_cvt_u32_f32 s39, s33
	s_wait_alu 0xfffe
	s_cvt_u32_f32 s38, s31
	s_wait_alu 0xfffe
	s_delay_alu instid0(SALU_CYCLE_2)
	s_mul_u64 s[42:43], s[40:41], s[38:39]
	s_wait_alu 0xfffe
	s_mul_hi_u32 s47, s38, s43
	s_mul_i32 s46, s38, s43
	s_mul_hi_u32 s36, s38, s42
	s_mul_i32 s33, s39, s42
	s_add_nc_u64 s[46:47], s[36:37], s[46:47]
	s_mul_hi_u32 s31, s39, s42
	s_mul_hi_u32 s48, s39, s43
	s_add_co_u32 s33, s46, s33
	s_wait_alu 0xfffe
	s_add_co_ci_u32 s44, s47, s31
	s_mul_i32 s42, s39, s43
	s_add_co_ci_u32 s43, s48, 0
	s_wait_alu 0xfffe
	s_add_nc_u64 s[42:43], s[44:45], s[42:43]
	s_wait_alu 0xfffe
	v_add_co_u32 v1, s31, s38, s42
	s_delay_alu instid0(VALU_DEP_1) | instskip(SKIP_1) | instid1(VALU_DEP_1)
	s_cmp_lg_u32 s31, 0
	s_add_co_ci_u32 s39, s39, s43
	v_readfirstlane_b32 s38, v1
	s_mov_b32 s43, s30
	s_wait_alu 0xfffe
	s_delay_alu instid0(VALU_DEP_1)
	s_mul_u64 s[40:41], s[40:41], s[38:39]
	s_wait_alu 0xfffe
	s_mul_hi_u32 s45, s38, s41
	s_mul_i32 s44, s38, s41
	s_mul_hi_u32 s36, s38, s40
	s_mul_i32 s33, s39, s40
	s_add_nc_u64 s[44:45], s[36:37], s[44:45]
	s_mul_hi_u32 s31, s39, s40
	s_mul_hi_u32 s38, s39, s41
	s_add_co_u32 s33, s44, s33
	s_wait_alu 0xfffe
	s_add_co_ci_u32 s42, s45, s31
	s_mul_i32 s40, s39, s41
	s_add_co_ci_u32 s41, s38, 0
	s_wait_alu 0xfffe
	s_add_nc_u64 s[40:41], s[42:43], s[40:41]
	s_wait_alu 0xfffe
	v_add_co_u32 v1, s31, v1, s40
	s_delay_alu instid0(VALU_DEP_1) | instskip(SKIP_1) | instid1(VALU_DEP_1)
	s_cmp_lg_u32 s31, 0
	s_add_co_ci_u32 s31, s39, s41
	v_readfirstlane_b32 s33, v1
	s_wait_alu 0xfffe
	s_mul_hi_u32 s39, s24, s31
	s_mul_i32 s38, s24, s31
	s_mul_hi_u32 s41, s25, s31
	s_mul_i32 s40, s25, s31
	;; [unrolled: 2-line block ×3, first 2 shown]
	s_wait_alu 0xfffe
	s_add_nc_u64 s[38:39], s[36:37], s[38:39]
	s_mul_hi_u32 s33, s25, s33
	s_wait_alu 0xfffe
	s_add_co_u32 s31, s38, s31
	s_add_co_ci_u32 s42, s39, s33
	s_add_co_ci_u32 s41, s41, 0
	s_wait_alu 0xfffe
	s_add_nc_u64 s[38:39], s[42:43], s[40:41]
	s_wait_alu 0xfffe
	s_mul_u64 s[40:41], s[34:35], s[38:39]
	s_add_nc_u64 s[42:43], s[38:39], 1
	s_wait_alu 0xfffe
	v_sub_co_u32 v1, s31, s24, s40
	s_sub_co_i32 s33, s25, s41
	s_cmp_lg_u32 s31, 0
	s_add_nc_u64 s[44:45], s[38:39], 2
	s_delay_alu instid0(VALU_DEP_1) | instskip(SKIP_2) | instid1(VALU_DEP_1)
	v_sub_co_u32 v2, s36, v1, s34
	s_sub_co_ci_u32 s33, s33, s35
	s_cmp_lg_u32 s36, 0
	v_readfirstlane_b32 s36, v2
	s_sub_co_ci_u32 s33, s33, 0
	s_delay_alu instid0(SALU_CYCLE_1) | instskip(SKIP_1) | instid1(VALU_DEP_1)
	s_cmp_ge_u32 s33, s35
	s_cselect_b32 s40, -1, 0
	s_cmp_ge_u32 s36, s34
	s_cselect_b32 s36, -1, 0
	s_cmp_eq_u32 s33, s35
	s_wait_alu 0xfffe
	s_cselect_b32 s33, s36, s40
	s_delay_alu instid0(SALU_CYCLE_1)
	s_cmp_lg_u32 s33, 0
	s_cselect_b32 s33, s44, s42
	s_cselect_b32 s36, s45, s43
	s_cmp_lg_u32 s31, 0
	v_readfirstlane_b32 s31, v1
	s_sub_co_ci_u32 s40, s25, s41
	s_wait_alu 0xfffe
	s_cmp_ge_u32 s40, s35
	s_cselect_b32 s41, -1, 0
	s_cmp_ge_u32 s31, s34
	s_cselect_b32 s31, -1, 0
	s_cmp_eq_u32 s40, s35
	s_wait_alu 0xfffe
	s_cselect_b32 s31, s31, s41
	s_wait_alu 0xfffe
	s_cmp_lg_u32 s31, 0
	s_cselect_b32 s39, s36, s39
	s_cselect_b32 s38, s33, s38
.LBB0_6:                                ;   in Loop: Header=BB0_4 Depth=1
	s_and_not1_b32 vcc_lo, exec_lo, s37
	s_cbranch_vccnz .LBB0_8
; %bb.7:                                ;   in Loop: Header=BB0_4 Depth=1
	v_cvt_f32_u32_e32 v1, s34
	s_sub_co_i32 s33, 0, s34
	s_mov_b32 s39, s30
	s_delay_alu instid0(VALU_DEP_1) | instskip(NEXT) | instid1(TRANS32_DEP_1)
	v_rcp_iflag_f32_e32 v1, v1
	v_mul_f32_e32 v1, 0x4f7ffffe, v1
	s_delay_alu instid0(VALU_DEP_1) | instskip(NEXT) | instid1(VALU_DEP_1)
	v_cvt_u32_f32_e32 v1, v1
	v_readfirstlane_b32 s31, v1
	s_delay_alu instid0(VALU_DEP_1) | instskip(NEXT) | instid1(SALU_CYCLE_1)
	s_mul_i32 s33, s33, s31
	s_mul_hi_u32 s33, s31, s33
	s_delay_alu instid0(SALU_CYCLE_1)
	s_add_co_i32 s31, s31, s33
	s_wait_alu 0xfffe
	s_mul_hi_u32 s31, s24, s31
	s_wait_alu 0xfffe
	s_mul_i32 s33, s31, s34
	s_add_co_i32 s36, s31, 1
	s_sub_co_i32 s33, s24, s33
	s_delay_alu instid0(SALU_CYCLE_1)
	s_sub_co_i32 s37, s33, s34
	s_cmp_ge_u32 s33, s34
	s_cselect_b32 s31, s36, s31
	s_cselect_b32 s33, s37, s33
	s_wait_alu 0xfffe
	s_add_co_i32 s36, s31, 1
	s_cmp_ge_u32 s33, s34
	s_cselect_b32 s38, s36, s31
.LBB0_8:                                ;   in Loop: Header=BB0_4 Depth=1
	s_load_b64 s[36:37], s[26:27], 0x0
	s_add_nc_u64 s[28:29], s[28:29], 1
	s_mul_u64 s[14:15], s[34:35], s[14:15]
	s_wait_alu 0xfffe
	v_cmp_ge_u64_e64 s31, s[28:29], s[22:23]
	s_mul_u64 s[34:35], s[38:39], s[34:35]
	s_add_nc_u64 s[26:27], s[26:27], 8
	s_wait_alu 0xfffe
	s_sub_nc_u64 s[24:25], s[24:25], s[34:35]
	s_add_nc_u64 s[8:9], s[8:9], 8
	s_and_b32 vcc_lo, exec_lo, s31
	s_wait_kmcnt 0x0
	s_wait_alu 0xfffe
	s_mul_u64 s[24:25], s[36:37], s[24:25]
	s_wait_alu 0xfffe
	s_add_nc_u64 s[18:19], s[24:25], s[18:19]
	s_cbranch_vccnz .LBB0_10
; %bb.9:                                ;   in Loop: Header=BB0_4 Depth=1
	s_mov_b64 s[24:25], s[38:39]
	s_branch .LBB0_4
.LBB0_10:
	v_cmp_lt_u64_e64 s8, s[16:17], s[14:15]
	s_mov_b64 s[24:25], 0
	s_delay_alu instid0(VALU_DEP_1)
	s_and_b32 vcc_lo, exec_lo, s8
	s_cbranch_vccnz .LBB0_12
; %bb.11:
	v_cvt_f32_u32_e32 v1, s14
	s_sub_co_i32 s9, 0, s14
	s_mov_b32 s25, 0
	s_delay_alu instid0(VALU_DEP_1) | instskip(NEXT) | instid1(TRANS32_DEP_1)
	v_rcp_iflag_f32_e32 v1, v1
	v_mul_f32_e32 v1, 0x4f7ffffe, v1
	s_delay_alu instid0(VALU_DEP_1) | instskip(NEXT) | instid1(VALU_DEP_1)
	v_cvt_u32_f32_e32 v1, v1
	v_readfirstlane_b32 s8, v1
	s_delay_alu instid0(VALU_DEP_1) | instskip(NEXT) | instid1(SALU_CYCLE_1)
	s_mul_i32 s9, s9, s8
	s_mul_hi_u32 s9, s8, s9
	s_delay_alu instid0(SALU_CYCLE_1) | instskip(NEXT) | instid1(SALU_CYCLE_1)
	s_add_co_i32 s8, s8, s9
	s_mul_hi_u32 s8, s16, s8
	s_delay_alu instid0(SALU_CYCLE_1) | instskip(SKIP_2) | instid1(SALU_CYCLE_1)
	s_mul_i32 s9, s8, s14
	s_add_co_i32 s15, s8, 1
	s_sub_co_i32 s9, s16, s9
	s_sub_co_i32 s16, s9, s14
	s_cmp_ge_u32 s9, s14
	s_wait_alu 0xfffe
	s_cselect_b32 s8, s15, s8
	s_cselect_b32 s9, s16, s9
	s_add_co_i32 s15, s8, 1
	s_cmp_ge_u32 s9, s14
	s_wait_alu 0xfffe
	s_cselect_b32 s24, s15, s8
.LBB0_12:
	s_lshl_b64 s[8:9], s[22:23], 3
	s_load_b64 s[0:1], s[0:1], 0x58
	s_add_nc_u64 s[8:9], s[10:11], s[8:9]
	v_and_b32_e32 v32, 15, v0
	s_load_b64 s[8:9], s[8:9], 0x0
	v_lshrrev_b32_e32 v31, 4, v0
	v_mov_b32_e32 v2, s21
	s_add_nc_u64 s[10:11], s[20:21], 16
	v_or_b32_e32 v1, s20, v32
	v_cmp_le_u64_e64 s10, s[10:11], s[12:13]
	v_add_nc_u32_e32 v29, 56, v31
	v_mul_u32_u24_e32 v33, 0x700, v32
	v_lshlrev_b32_e32 v34, 4, v31
	v_cmp_gt_u64_e32 vcc_lo, s[12:13], v[1:2]
	v_add_nc_u32_e32 v30, 28, v31
	v_add_nc_u32_e32 v28, 0x54, v31
	s_or_b32 s10, s10, vcc_lo
	s_wait_kmcnt 0x0
	s_mul_u64 s[8:9], s[8:9], s[24:25]
	s_delay_alu instid0(SALU_CYCLE_1)
	s_add_nc_u64 s[8:9], s[8:9], s[18:19]
	s_wait_alu 0xfffe
	s_and_saveexec_b32 s11, s10
	s_cbranch_execz .LBB0_14
; %bb.13:
	v_mad_co_u64_u32 v[1:2], null, s6, v32, 0
	v_mad_co_u64_u32 v[3:4], null, s4, v31, 0
	v_mad_co_u64_u32 v[5:6], null, s4, v30, 0
	v_mad_co_u64_u32 v[10:11], null, s4, v28, 0
	s_lshl_b64 s[12:13], s[8:9], 4
	v_add3_u32 v17, 0, v33, v34
	s_delay_alu instid0(VALU_DEP_4)
	v_mad_co_u64_u32 v[7:8], null, s7, v32, v[2:3]
	v_mad_co_u64_u32 v[8:9], null, s4, v29, 0
	v_mov_b32_e32 v2, v4
	v_mov_b32_e32 v4, v6
	s_wait_alu 0xfffe
	s_add_nc_u64 s[12:13], s[0:1], s[12:13]
	s_delay_alu instid0(VALU_DEP_2) | instskip(SKIP_3) | instid1(VALU_DEP_3)
	v_mad_co_u64_u32 v[12:13], null, s5, v31, v[2:3]
	v_mov_b32_e32 v2, v7
	v_mad_co_u64_u32 v[6:7], null, s5, v30, v[4:5]
	v_dual_mov_b32 v4, v9 :: v_dual_mov_b32 v7, v11
	v_lshlrev_b64_e32 v[1:2], 4, v[1:2]
	s_delay_alu instid0(VALU_DEP_2) | instskip(SKIP_2) | instid1(VALU_DEP_3)
	v_mad_co_u64_u32 v[13:14], null, s5, v29, v[4:5]
	v_mov_b32_e32 v4, v12
	s_wait_alu 0xfffe
	v_add_co_u32 v12, vcc_lo, s12, v1
	s_delay_alu instid0(VALU_DEP_4) | instskip(NEXT) | instid1(VALU_DEP_3)
	v_add_co_ci_u32_e32 v14, vcc_lo, s13, v2, vcc_lo
	v_lshlrev_b64_e32 v[1:2], 4, v[3:4]
	v_mad_co_u64_u32 v[3:4], null, s5, v28, v[7:8]
	v_mov_b32_e32 v9, v13
	v_lshlrev_b64_e32 v[4:5], 4, v[5:6]
	s_delay_alu instid0(VALU_DEP_4) | instskip(NEXT) | instid1(VALU_DEP_3)
	v_add_co_u32 v1, vcc_lo, v12, v1
	v_lshlrev_b64_e32 v[6:7], 4, v[8:9]
	v_mov_b32_e32 v11, v3
	s_wait_alu 0xfffd
	v_add_co_ci_u32_e32 v2, vcc_lo, v14, v2, vcc_lo
	v_add_co_u32 v8, vcc_lo, v12, v4
	s_delay_alu instid0(VALU_DEP_3)
	v_lshlrev_b64_e32 v[3:4], 4, v[10:11]
	s_wait_alu 0xfffd
	v_add_co_ci_u32_e32 v9, vcc_lo, v14, v5, vcc_lo
	v_add_co_u32 v10, vcc_lo, v12, v6
	s_wait_alu 0xfffd
	v_add_co_ci_u32_e32 v11, vcc_lo, v14, v7, vcc_lo
	v_add_co_u32 v13, vcc_lo, v12, v3
	s_wait_alu 0xfffd
	v_add_co_ci_u32_e32 v14, vcc_lo, v14, v4, vcc_lo
	s_clause 0x3
	global_load_b128 v[1:4], v[1:2], off
	global_load_b128 v[5:8], v[8:9], off
	;; [unrolled: 1-line block ×4, first 2 shown]
	s_wait_loadcnt 0x3
	ds_store_b128 v17, v[1:4]
	s_wait_loadcnt 0x2
	ds_store_b128 v17, v[5:8] offset:448
	s_wait_loadcnt 0x1
	ds_store_b128 v17, v[9:12] offset:896
	;; [unrolled: 2-line block ×3, first 2 shown]
.LBB0_14:
	s_wait_alu 0xfffe
	s_or_b32 exec_lo, exec_lo, s11
	v_lshrrev_b16 v1, 2, v0
	global_wb scope:SCOPE_SE
	s_wait_dscnt 0x0
	s_barrier_signal -1
	s_barrier_wait -1
	global_inv scope:SCOPE_SE
	v_and_b32_e32 v1, 0xffff, v1
                                        ; implicit-def: $vgpr26_vgpr27
                                        ; implicit-def: $vgpr22_vgpr23
	s_delay_alu instid0(VALU_DEP_1) | instskip(NEXT) | instid1(VALU_DEP_1)
	v_mul_u32_u24_e32 v1, 0x4925, v1
	v_lshrrev_b32_e32 v1, 17, v1
	s_delay_alu instid0(VALU_DEP_1) | instskip(SKIP_1) | instid1(VALU_DEP_2)
	v_and_b32_e32 v2, 15, v1
	v_mul_lo_u16 v1, v1, 28
	v_mul_lo_u16 v2, 0x70, v2
	s_delay_alu instid0(VALU_DEP_2) | instskip(NEXT) | instid1(VALU_DEP_2)
	v_sub_nc_u16 v20, v0, v1
	v_and_b32_e32 v0, 0xffff, v2
	s_delay_alu instid0(VALU_DEP_2) | instskip(SKIP_1) | instid1(VALU_DEP_3)
	v_and_b32_e32 v37, 0xffff, v20
	v_cmp_gt_u16_e32 vcc_lo, 16, v20
	v_lshlrev_b32_e32 v38, 4, v0
	s_delay_alu instid0(VALU_DEP_3) | instskip(NEXT) | instid1(VALU_DEP_1)
	v_lshlrev_b32_e32 v0, 4, v37
	v_add3_u32 v35, 0, v0, v38
	v_add3_u32 v36, 0, v38, v0
	ds_load_b128 v[0:3], v35 offset:896
	ds_load_b128 v[4:7], v36
	ds_load_b128 v[8:11], v35 offset:448
	ds_load_b128 v[12:15], v35 offset:1344
	global_wb scope:SCOPE_SE
	s_wait_dscnt 0x0
	s_barrier_signal -1
	s_barrier_wait -1
	global_inv scope:SCOPE_SE
	v_add_f64_e64 v[0:1], v[4:5], -v[0:1]
	v_add_f64_e64 v[16:17], v[6:7], -v[2:3]
	;; [unrolled: 1-line block ×4, first 2 shown]
	s_delay_alu instid0(VALU_DEP_4) | instskip(NEXT) | instid1(VALU_DEP_4)
	v_fma_f64 v[18:19], v[4:5], 2.0, -v[0:1]
	v_fma_f64 v[6:7], v[6:7], 2.0, -v[16:17]
	s_delay_alu instid0(VALU_DEP_4) | instskip(NEXT) | instid1(VALU_DEP_4)
	v_fma_f64 v[4:5], v[8:9], 2.0, -v[2:3]
	v_fma_f64 v[10:11], v[10:11], 2.0, -v[12:13]
	v_add_f64_e32 v[12:13], v[0:1], v[12:13]
	v_add_f64_e64 v[14:15], v[16:17], -v[2:3]
	s_delay_alu instid0(VALU_DEP_4) | instskip(NEXT) | instid1(VALU_DEP_4)
	v_add_f64_e64 v[8:9], v[18:19], -v[4:5]
	v_add_f64_e64 v[10:11], v[6:7], -v[10:11]
	s_delay_alu instid0(VALU_DEP_4) | instskip(NEXT) | instid1(VALU_DEP_3)
	v_fma_f64 v[4:5], v[0:1], 2.0, -v[12:13]
	v_fma_f64 v[0:1], v[18:19], 2.0, -v[8:9]
	s_delay_alu instid0(VALU_DEP_3)
	v_fma_f64 v[2:3], v[6:7], 2.0, -v[10:11]
	v_fma_f64 v[6:7], v[16:17], 2.0, -v[14:15]
	v_mad_u32_u24 v16, v37, 48, v35
                                        ; implicit-def: $vgpr18_vgpr19
	ds_store_b128 v16, v[8:11] offset:32
	ds_store_b128 v16, v[12:15] offset:48
	ds_store_b128 v16, v[0:3]
	ds_store_b128 v16, v[4:7] offset:16
	global_wb scope:SCOPE_SE
	s_wait_dscnt 0x0
	s_barrier_signal -1
	s_barrier_wait -1
	global_inv scope:SCOPE_SE
	s_and_saveexec_b32 s11, vcc_lo
	s_cbranch_execz .LBB0_16
; %bb.15:
	ds_load_b128 v[0:3], v36
	ds_load_b128 v[4:7], v35 offset:256
	ds_load_b128 v[8:11], v35 offset:512
	;; [unrolled: 1-line block ×6, first 2 shown]
.LBB0_16:
	s_wait_alu 0xfffe
	s_or_b32 exec_lo, exec_lo, s11
	global_wb scope:SCOPE_SE
	s_wait_dscnt 0x0
	s_barrier_signal -1
	s_barrier_wait -1
	global_inv scope:SCOPE_SE
	s_and_saveexec_b32 s11, vcc_lo
	s_cbranch_execz .LBB0_18
; %bb.17:
	v_and_b32_e32 v75, 3, v37
	s_mov_b32 s12, 0xe976ee23
	s_mov_b32 s13, 0x3fe11646
	;; [unrolled: 1-line block ×4, first 2 shown]
	v_mul_u32_u24_e32 v39, 6, v75
	s_mov_b32 s16, 0x429ad128
	s_mov_b32 s17, 0xbfebfeb5
	;; [unrolled: 1-line block ×4, first 2 shown]
	v_lshlrev_b32_e32 v59, 4, v39
	s_mov_b32 s18, 0xaaaaaaaa
	s_mov_b32 s19, 0xbff2aaaa
	s_clause 0x5
	global_load_b128 v[39:42], v59, s[2:3] offset:16
	global_load_b128 v[43:46], v59, s[2:3] offset:64
	global_load_b128 v[47:50], v59, s[2:3]
	global_load_b128 v[51:54], v59, s[2:3] offset:80
	global_load_b128 v[55:58], v59, s[2:3] offset:48
	;; [unrolled: 1-line block ×3, first 2 shown]
	s_wait_loadcnt 0x5
	v_mul_f64_e32 v[63:64], v[8:9], v[41:42]
	s_wait_loadcnt 0x4
	v_mul_f64_e32 v[65:66], v[20:21], v[45:46]
	;; [unrolled: 2-line block ×4, first 2 shown]
	v_mul_f64_e32 v[41:42], v[10:11], v[41:42]
	v_mul_f64_e32 v[45:46], v[22:23], v[45:46]
	;; [unrolled: 1-line block ×4, first 2 shown]
	s_wait_loadcnt 0x1
	v_mul_f64_e32 v[71:72], v[18:19], v[57:58]
	s_wait_loadcnt 0x0
	v_mul_f64_e32 v[73:74], v[14:15], v[61:62]
	v_mul_f64_e32 v[61:62], v[12:13], v[61:62]
	;; [unrolled: 1-line block ×3, first 2 shown]
	v_fma_f64 v[10:11], v[10:11], v[39:40], -v[63:64]
	v_fma_f64 v[22:23], v[22:23], v[43:44], -v[65:66]
	;; [unrolled: 1-line block ×4, first 2 shown]
	v_fma_f64 v[8:9], v[8:9], v[39:40], v[41:42]
	v_fma_f64 v[20:21], v[20:21], v[43:44], v[45:46]
	;; [unrolled: 1-line block ×6, first 2 shown]
	v_fma_f64 v[14:15], v[14:15], v[59:60], -v[61:62]
	v_fma_f64 v[18:19], v[18:19], v[55:56], -v[57:58]
	v_add_f64_e32 v[39:40], v[10:11], v[22:23]
	v_add_f64_e64 v[10:11], v[10:11], -v[22:23]
	v_add_f64_e32 v[41:42], v[6:7], v[26:27]
	v_add_f64_e64 v[6:7], v[6:7], -v[26:27]
	;; [unrolled: 2-line block ×4, first 2 shown]
	v_add_f64_e64 v[47:48], v[16:17], -v[12:13]
	v_add_f64_e32 v[12:13], v[12:13], v[16:17]
	v_add_f64_e32 v[20:21], v[14:15], v[18:19]
	v_add_f64_e64 v[14:15], v[18:19], -v[14:15]
	v_add_f64_e32 v[16:17], v[39:40], v[41:42]
	v_add_f64_e64 v[53:54], v[10:11], -v[6:7]
	;; [unrolled: 2-line block ×3, first 2 shown]
	v_add_f64_e64 v[22:23], v[47:48], -v[8:9]
	v_add_f64_e64 v[49:50], v[45:46], -v[12:13]
	;; [unrolled: 1-line block ×4, first 2 shown]
	v_add_f64_e32 v[8:9], v[47:48], v[8:9]
	v_add_f64_e64 v[47:48], v[4:5], -v[47:48]
	v_add_f64_e64 v[55:56], v[6:7], -v[14:15]
	v_add_f64_e32 v[10:11], v[14:15], v[10:11]
	v_add_f64_e32 v[16:17], v[20:21], v[16:17]
	v_add_f64_e64 v[20:21], v[20:21], -v[39:40]
	v_add_f64_e64 v[39:40], v[39:40], -v[41:42]
	;; [unrolled: 1-line block ×3, first 2 shown]
	v_add_f64_e32 v[18:19], v[12:13], v[18:19]
	v_add_f64_e64 v[12:13], v[12:13], -v[43:44]
	s_wait_alu 0xfffe
	v_mul_f64_e32 v[22:23], s[12:13], v[22:23]
	v_mul_f64_e32 v[43:44], s[14:15], v[49:50]
	;; [unrolled: 1-line block ×4, first 2 shown]
	s_mov_b32 s12, 0x36b3c0b5
	s_mov_b32 s13, 0x3fac98ee
	v_mul_f64_e32 v[45:46], s[16:17], v[51:52]
	v_mul_f64_e32 v[49:50], s[16:17], v[53:54]
	s_mov_b32 s15, 0xbfd5d0dc
	s_mov_b32 s14, 0xb247c609
	v_add_f64_e32 v[4:5], v[8:9], v[4:5]
	v_add_f64_e32 v[6:7], v[10:11], v[6:7]
	;; [unrolled: 1-line block ×3, first 2 shown]
	s_wait_alu 0xfffe
	v_mul_f64_e32 v[14:15], s[12:13], v[20:21]
	v_add_f64_e32 v[0:1], v[0:1], v[18:19]
	v_mul_f64_e32 v[57:58], s[12:13], v[12:13]
	v_fma_f64 v[8:9], v[47:48], s[14:15], v[22:23]
	v_fma_f64 v[61:62], v[41:42], s[20:21], -v[43:44]
	v_fma_f64 v[20:21], v[20:21], s[12:13], v[24:25]
	v_fma_f64 v[59:60], v[55:56], s[14:15], v[26:27]
	s_mov_b32 s15, 0x3fd5d0dc
	v_fma_f64 v[24:25], v[39:40], s[20:21], -v[24:25]
	s_mov_b32 s21, 0x3fe77f67
	v_fma_f64 v[22:23], v[51:52], s[16:17], -v[22:23]
	s_wait_alu 0xfffe
	v_fma_f64 v[45:46], v[47:48], s[14:15], -v[45:46]
	v_fma_f64 v[12:13], v[12:13], s[12:13], v[43:44]
	s_mov_b32 s12, 0x37c3f68c
	s_mov_b32 s13, 0xbfdc38aa
	v_fma_f64 v[16:17], v[16:17], s[18:19], v[2:3]
	v_fma_f64 v[10:11], v[39:40], s[20:21], -v[14:15]
	v_fma_f64 v[14:15], v[53:54], s[16:17], -v[26:27]
	;; [unrolled: 1-line block ×3, first 2 shown]
	v_fma_f64 v[18:19], v[18:19], s[18:19], v[0:1]
	v_fma_f64 v[39:40], v[41:42], s[20:21], -v[57:58]
	s_wait_alu 0xfffe
	v_fma_f64 v[8:9], v[4:5], s[12:13], v[8:9]
	v_fma_f64 v[41:42], v[6:7], s[12:13], v[59:60]
	;; [unrolled: 1-line block ×4, first 2 shown]
	v_add_f64_e32 v[20:21], v[20:21], v[16:17]
	v_add_f64_e32 v[24:25], v[24:25], v[16:17]
	;; [unrolled: 1-line block ×3, first 2 shown]
	v_fma_f64 v[45:46], v[6:7], s[12:13], v[26:27]
	v_add_f64_e32 v[47:48], v[12:13], v[18:19]
	v_add_f64_e32 v[49:50], v[61:62], v[18:19]
	v_fma_f64 v[43:44], v[6:7], s[12:13], v[14:15]
	v_add_f64_e32 v[12:13], v[39:40], v[18:19]
	v_lshrrev_b32_e32 v39, 2, v37
	s_delay_alu instid0(VALU_DEP_1) | instskip(NEXT) | instid1(VALU_DEP_1)
	v_mul_u32_u24_e32 v39, 28, v39
	v_or_b32_e32 v39, v39, v75
	s_delay_alu instid0(VALU_DEP_1) | instskip(NEXT) | instid1(VALU_DEP_1)
	v_lshlrev_b32_e32 v39, 4, v39
	v_add3_u32 v38, 0, v39, v38
	v_add_f64_e64 v[26:27], v[20:21], -v[8:9]
	v_add_f64_e32 v[10:11], v[4:5], v[24:25]
	v_add_f64_e64 v[14:15], v[16:17], -v[22:23]
	v_add_f64_e32 v[18:19], v[22:23], v[16:17]
	;; [unrolled: 2-line block ×3, first 2 shown]
	v_add_f64_e32 v[6:7], v[8:9], v[20:21]
	v_add_f64_e32 v[20:21], v[45:46], v[49:50]
	v_add_f64_e64 v[16:17], v[12:13], -v[43:44]
	v_add_f64_e32 v[12:13], v[43:44], v[12:13]
	v_add_f64_e64 v[8:9], v[49:50], -v[45:46]
	v_add_f64_e64 v[4:5], v[47:48], -v[41:42]
	ds_store_b128 v38, v[0:3]
	ds_store_b128 v38, v[24:27] offset:64
	ds_store_b128 v38, v[20:23] offset:128
	;; [unrolled: 1-line block ×6, first 2 shown]
.LBB0_18:
	s_wait_alu 0xfffe
	s_or_b32 exec_lo, exec_lo, s11
	v_mul_u32_u24_e32 v0, 3, v37
	global_wb scope:SCOPE_SE
	s_wait_dscnt 0x0
	s_barrier_signal -1
	s_barrier_wait -1
	global_inv scope:SCOPE_SE
	v_lshlrev_b32_e32 v8, 4, v0
	s_clause 0x2
	global_load_b128 v[0:3], v8, s[2:3] offset:384
	global_load_b128 v[4:7], v8, s[2:3] offset:400
	;; [unrolled: 1-line block ×3, first 2 shown]
	ds_load_b128 v[12:15], v35 offset:448
	ds_load_b128 v[16:19], v35 offset:896
	;; [unrolled: 1-line block ×3, first 2 shown]
	s_wait_loadcnt_dscnt 0x202
	v_mul_f64_e32 v[24:25], v[14:15], v[2:3]
	v_mul_f64_e32 v[2:3], v[12:13], v[2:3]
	s_wait_loadcnt_dscnt 0x101
	v_mul_f64_e32 v[26:27], v[18:19], v[6:7]
	v_mul_f64_e32 v[6:7], v[16:17], v[6:7]
	;; [unrolled: 3-line block ×3, first 2 shown]
	v_fma_f64 v[12:13], v[12:13], v[0:1], v[24:25]
	v_fma_f64 v[14:15], v[14:15], v[0:1], -v[2:3]
	v_fma_f64 v[16:17], v[16:17], v[4:5], v[26:27]
	v_fma_f64 v[4:5], v[18:19], v[4:5], -v[6:7]
	;; [unrolled: 2-line block ×3, first 2 shown]
	ds_load_b128 v[0:3], v36
	global_wb scope:SCOPE_SE
	s_wait_dscnt 0x0
	s_barrier_signal -1
	s_barrier_wait -1
	global_inv scope:SCOPE_SE
	v_add_f64_e64 v[10:11], v[0:1], -v[16:17]
	v_add_f64_e64 v[16:17], v[2:3], -v[4:5]
	;; [unrolled: 1-line block ×4, first 2 shown]
	s_delay_alu instid0(VALU_DEP_4) | instskip(NEXT) | instid1(VALU_DEP_4)
	v_fma_f64 v[20:21], v[0:1], 2.0, -v[10:11]
	v_fma_f64 v[22:23], v[2:3], 2.0, -v[16:17]
	s_delay_alu instid0(VALU_DEP_4) | instskip(NEXT) | instid1(VALU_DEP_4)
	v_fma_f64 v[2:3], v[12:13], 2.0, -v[18:19]
	v_fma_f64 v[6:7], v[14:15], 2.0, -v[4:5]
	v_add_f64_e32 v[0:1], v[10:11], v[4:5]
	s_delay_alu instid0(VALU_DEP_3) | instskip(NEXT) | instid1(VALU_DEP_3)
	v_add_f64_e64 v[4:5], v[20:21], -v[2:3]
	v_add_f64_e64 v[6:7], v[22:23], -v[6:7]
	;; [unrolled: 1-line block ×3, first 2 shown]
	s_delay_alu instid0(VALU_DEP_4) | instskip(NEXT) | instid1(VALU_DEP_4)
	v_fma_f64 v[8:9], v[10:11], 2.0, -v[0:1]
	v_fma_f64 v[12:13], v[20:21], 2.0, -v[4:5]
	s_delay_alu instid0(VALU_DEP_4) | instskip(NEXT) | instid1(VALU_DEP_4)
	v_fma_f64 v[14:15], v[22:23], 2.0, -v[6:7]
	v_fma_f64 v[10:11], v[16:17], 2.0, -v[2:3]
	ds_store_b128 v35, v[4:7] offset:896
	ds_store_b128 v35, v[0:3] offset:1344
	ds_store_b128 v35, v[12:15]
	ds_store_b128 v35, v[8:11] offset:448
	global_wb scope:SCOPE_SE
	s_wait_dscnt 0x0
	s_barrier_signal -1
	s_barrier_wait -1
	global_inv scope:SCOPE_SE
	s_and_saveexec_b32 s2, s10
	s_cbranch_execz .LBB0_20
; %bb.19:
	v_mad_co_u64_u32 v[0:1], null, s6, v32, 0
	v_mad_co_u64_u32 v[2:3], null, s4, v31, 0
	;; [unrolled: 1-line block ×5, first 2 shown]
	s_delay_alu instid0(VALU_DEP_4) | instskip(SKIP_3) | instid1(VALU_DEP_2)
	v_mad_co_u64_u32 v[4:5], null, s7, v32, v[1:2]
	s_lshl_b64 s[2:3], s[8:9], 4
	v_add3_u32 v12, 0, v33, v34
	s_add_nc_u64 s[0:1], s[0:1], s[2:3]
	v_mad_co_u64_u32 v[5:6], null, s5, v31, v[3:4]
	v_dual_mov_b32 v1, v4 :: v_dual_mov_b32 v4, v9
	v_mov_b32_e32 v6, v17
	s_delay_alu instid0(VALU_DEP_2) | instskip(NEXT) | instid1(VALU_DEP_4)
	v_lshlrev_b64_e32 v[0:1], 4, v[0:1]
	v_mov_b32_e32 v3, v5
	v_mov_b32_e32 v5, v19
	s_delay_alu instid0(VALU_DEP_3) | instskip(NEXT) | instid1(VALU_DEP_2)
	v_add_co_u32 v25, vcc_lo, s0, v0
	v_mad_co_u64_u32 v[9:10], null, s5, v30, v[4:5]
	s_delay_alu instid0(VALU_DEP_4) | instskip(SKIP_4) | instid1(VALU_DEP_4)
	v_lshlrev_b64_e32 v[2:3], 4, v[2:3]
	s_wait_alu 0xfffd
	v_add_co_ci_u32_e32 v26, vcc_lo, s1, v1, vcc_lo
	v_mad_co_u64_u32 v[0:1], null, s5, v29, v[6:7]
	v_mad_co_u64_u32 v[22:23], null, s5, v28, v[5:6]
	v_add_co_u32 v20, vcc_lo, v25, v2
	s_wait_alu 0xfffd
	v_add_co_ci_u32_e32 v21, vcc_lo, v26, v3, vcc_lo
	s_delay_alu instid0(VALU_DEP_4)
	v_mov_b32_e32 v17, v0
	ds_load_b128 v[0:3], v12
	ds_load_b128 v[4:7], v12 offset:448
	v_lshlrev_b64_e32 v[23:24], 4, v[8:9]
	ds_load_b128 v[8:11], v12 offset:896
	ds_load_b128 v[12:15], v12 offset:1344
	v_mov_b32_e32 v19, v22
	v_lshlrev_b64_e32 v[16:17], 4, v[16:17]
	v_add_co_u32 v22, vcc_lo, v25, v23
	s_delay_alu instid0(VALU_DEP_3) | instskip(SKIP_2) | instid1(VALU_DEP_4)
	v_lshlrev_b64_e32 v[18:19], 4, v[18:19]
	s_wait_alu 0xfffd
	v_add_co_ci_u32_e32 v23, vcc_lo, v26, v24, vcc_lo
	v_add_co_u32 v16, vcc_lo, v25, v16
	s_wait_alu 0xfffd
	v_add_co_ci_u32_e32 v17, vcc_lo, v26, v17, vcc_lo
	v_add_co_u32 v18, vcc_lo, v25, v18
	s_wait_alu 0xfffd
	v_add_co_ci_u32_e32 v19, vcc_lo, v26, v19, vcc_lo
	s_wait_dscnt 0x3
	global_store_b128 v[20:21], v[0:3], off
	s_wait_dscnt 0x2
	global_store_b128 v[22:23], v[4:7], off
	;; [unrolled: 2-line block ×4, first 2 shown]
.LBB0_20:
	s_nop 0
	s_sendmsg sendmsg(MSG_DEALLOC_VGPRS)
	s_endpgm
	.section	.rodata,"a",@progbits
	.p2align	6, 0x0
	.amdhsa_kernel fft_rtc_back_len112_factors_4_7_4_wgs_448_tpt_28_dp_ip_CI_sbcc
		.amdhsa_group_segment_fixed_size 0
		.amdhsa_private_segment_fixed_size 0
		.amdhsa_kernarg_size 96
		.amdhsa_user_sgpr_count 2
		.amdhsa_user_sgpr_dispatch_ptr 0
		.amdhsa_user_sgpr_queue_ptr 0
		.amdhsa_user_sgpr_kernarg_segment_ptr 1
		.amdhsa_user_sgpr_dispatch_id 0
		.amdhsa_user_sgpr_private_segment_size 0
		.amdhsa_wavefront_size32 1
		.amdhsa_uses_dynamic_stack 0
		.amdhsa_enable_private_segment 0
		.amdhsa_system_sgpr_workgroup_id_x 1
		.amdhsa_system_sgpr_workgroup_id_y 0
		.amdhsa_system_sgpr_workgroup_id_z 0
		.amdhsa_system_sgpr_workgroup_info 0
		.amdhsa_system_vgpr_workitem_id 0
		.amdhsa_next_free_vgpr 76
		.amdhsa_next_free_sgpr 49
		.amdhsa_reserve_vcc 1
		.amdhsa_float_round_mode_32 0
		.amdhsa_float_round_mode_16_64 0
		.amdhsa_float_denorm_mode_32 3
		.amdhsa_float_denorm_mode_16_64 3
		.amdhsa_fp16_overflow 0
		.amdhsa_workgroup_processor_mode 1
		.amdhsa_memory_ordered 1
		.amdhsa_forward_progress 0
		.amdhsa_round_robin_scheduling 0
		.amdhsa_exception_fp_ieee_invalid_op 0
		.amdhsa_exception_fp_denorm_src 0
		.amdhsa_exception_fp_ieee_div_zero 0
		.amdhsa_exception_fp_ieee_overflow 0
		.amdhsa_exception_fp_ieee_underflow 0
		.amdhsa_exception_fp_ieee_inexact 0
		.amdhsa_exception_int_div_zero 0
	.end_amdhsa_kernel
	.text
.Lfunc_end0:
	.size	fft_rtc_back_len112_factors_4_7_4_wgs_448_tpt_28_dp_ip_CI_sbcc, .Lfunc_end0-fft_rtc_back_len112_factors_4_7_4_wgs_448_tpt_28_dp_ip_CI_sbcc
                                        ; -- End function
	.section	.AMDGPU.csdata,"",@progbits
; Kernel info:
; codeLenInByte = 4060
; NumSgprs: 51
; NumVgprs: 76
; ScratchSize: 0
; MemoryBound: 0
; FloatMode: 240
; IeeeMode: 1
; LDSByteSize: 0 bytes/workgroup (compile time only)
; SGPRBlocks: 6
; VGPRBlocks: 9
; NumSGPRsForWavesPerEU: 51
; NumVGPRsForWavesPerEU: 76
; Occupancy: 14
; WaveLimiterHint : 1
; COMPUTE_PGM_RSRC2:SCRATCH_EN: 0
; COMPUTE_PGM_RSRC2:USER_SGPR: 2
; COMPUTE_PGM_RSRC2:TRAP_HANDLER: 0
; COMPUTE_PGM_RSRC2:TGID_X_EN: 1
; COMPUTE_PGM_RSRC2:TGID_Y_EN: 0
; COMPUTE_PGM_RSRC2:TGID_Z_EN: 0
; COMPUTE_PGM_RSRC2:TIDIG_COMP_CNT: 0
	.text
	.p2alignl 7, 3214868480
	.fill 96, 4, 3214868480
	.type	__hip_cuid_7cd34faac39f0f61,@object ; @__hip_cuid_7cd34faac39f0f61
	.section	.bss,"aw",@nobits
	.globl	__hip_cuid_7cd34faac39f0f61
__hip_cuid_7cd34faac39f0f61:
	.byte	0                               ; 0x0
	.size	__hip_cuid_7cd34faac39f0f61, 1

	.ident	"AMD clang version 19.0.0git (https://github.com/RadeonOpenCompute/llvm-project roc-6.4.0 25133 c7fe45cf4b819c5991fe208aaa96edf142730f1d)"
	.section	".note.GNU-stack","",@progbits
	.addrsig
	.addrsig_sym __hip_cuid_7cd34faac39f0f61
	.amdgpu_metadata
---
amdhsa.kernels:
  - .args:
      - .actual_access:  read_only
        .address_space:  global
        .offset:         0
        .size:           8
        .value_kind:     global_buffer
      - .address_space:  global
        .offset:         8
        .size:           8
        .value_kind:     global_buffer
      - .offset:         16
        .size:           8
        .value_kind:     by_value
      - .actual_access:  read_only
        .address_space:  global
        .offset:         24
        .size:           8
        .value_kind:     global_buffer
      - .actual_access:  read_only
        .address_space:  global
        .offset:         32
        .size:           8
        .value_kind:     global_buffer
      - .offset:         40
        .size:           8
        .value_kind:     by_value
      - .actual_access:  read_only
        .address_space:  global
        .offset:         48
        .size:           8
        .value_kind:     global_buffer
      - .actual_access:  read_only
        .address_space:  global
        .offset:         56
        .size:           8
        .value_kind:     global_buffer
      - .offset:         64
        .size:           4
        .value_kind:     by_value
      - .actual_access:  read_only
        .address_space:  global
        .offset:         72
        .size:           8
        .value_kind:     global_buffer
      - .actual_access:  read_only
        .address_space:  global
        .offset:         80
        .size:           8
        .value_kind:     global_buffer
      - .address_space:  global
        .offset:         88
        .size:           8
        .value_kind:     global_buffer
    .group_segment_fixed_size: 0
    .kernarg_segment_align: 8
    .kernarg_segment_size: 96
    .language:       OpenCL C
    .language_version:
      - 2
      - 0
    .max_flat_workgroup_size: 448
    .name:           fft_rtc_back_len112_factors_4_7_4_wgs_448_tpt_28_dp_ip_CI_sbcc
    .private_segment_fixed_size: 0
    .sgpr_count:     51
    .sgpr_spill_count: 0
    .symbol:         fft_rtc_back_len112_factors_4_7_4_wgs_448_tpt_28_dp_ip_CI_sbcc.kd
    .uniform_work_group_size: 1
    .uses_dynamic_stack: false
    .vgpr_count:     76
    .vgpr_spill_count: 0
    .wavefront_size: 32
    .workgroup_processor_mode: 1
amdhsa.target:   amdgcn-amd-amdhsa--gfx1201
amdhsa.version:
  - 1
  - 2
...

	.end_amdgpu_metadata
